;; amdgpu-corpus repo=ROCm/rocFFT kind=compiled arch=gfx906 opt=O3
	.text
	.amdgcn_target "amdgcn-amd-amdhsa--gfx906"
	.amdhsa_code_object_version 6
	.protected	fft_rtc_back_len1815_factors_11_3_5_11_wgs_165_tpt_165_half_op_CI_CI_unitstride_sbrr_dirReg ; -- Begin function fft_rtc_back_len1815_factors_11_3_5_11_wgs_165_tpt_165_half_op_CI_CI_unitstride_sbrr_dirReg
	.globl	fft_rtc_back_len1815_factors_11_3_5_11_wgs_165_tpt_165_half_op_CI_CI_unitstride_sbrr_dirReg
	.p2align	8
	.type	fft_rtc_back_len1815_factors_11_3_5_11_wgs_165_tpt_165_half_op_CI_CI_unitstride_sbrr_dirReg,@function
fft_rtc_back_len1815_factors_11_3_5_11_wgs_165_tpt_165_half_op_CI_CI_unitstride_sbrr_dirReg: ; @fft_rtc_back_len1815_factors_11_3_5_11_wgs_165_tpt_165_half_op_CI_CI_unitstride_sbrr_dirReg
; %bb.0:
	s_load_dwordx4 s[8:11], s[4:5], 0x58
	s_load_dwordx4 s[12:15], s[4:5], 0x0
	;; [unrolled: 1-line block ×3, first 2 shown]
	v_mul_u32_u24_e32 v1, 0x18e, v0
	v_mov_b32_e32 v3, 0
	v_mov_b32_e32 v8, 0
	s_waitcnt lgkmcnt(0)
	v_cmp_lt_u64_e64 s[0:1], s[14:15], 2
	v_add_u32_sdwa v10, s6, v1 dst_sel:DWORD dst_unused:UNUSED_PAD src0_sel:DWORD src1_sel:WORD_1
	v_mov_b32_e32 v11, v3
	s_and_b64 vcc, exec, s[0:1]
	v_mov_b32_e32 v9, 0
	s_cbranch_vccnz .LBB0_8
; %bb.1:
	s_load_dwordx2 s[0:1], s[4:5], 0x10
	s_add_u32 s2, s18, 8
	s_addc_u32 s3, s19, 0
	s_add_u32 s6, s16, 8
	s_addc_u32 s7, s17, 0
	v_mov_b32_e32 v8, 0
	s_waitcnt lgkmcnt(0)
	s_add_u32 s20, s0, 8
	v_mov_b32_e32 v9, 0
	v_mov_b32_e32 v1, v8
	s_addc_u32 s21, s1, 0
	s_mov_b64 s[22:23], 1
	v_mov_b32_e32 v2, v9
.LBB0_2:                                ; =>This Inner Loop Header: Depth=1
	s_load_dwordx2 s[24:25], s[20:21], 0x0
                                        ; implicit-def: $vgpr5_vgpr6
	s_waitcnt lgkmcnt(0)
	v_or_b32_e32 v4, s25, v11
	v_cmp_ne_u64_e32 vcc, 0, v[3:4]
	s_and_saveexec_b64 s[0:1], vcc
	s_xor_b64 s[26:27], exec, s[0:1]
	s_cbranch_execz .LBB0_4
; %bb.3:                                ;   in Loop: Header=BB0_2 Depth=1
	v_cvt_f32_u32_e32 v4, s24
	v_cvt_f32_u32_e32 v5, s25
	s_sub_u32 s0, 0, s24
	s_subb_u32 s1, 0, s25
	v_mac_f32_e32 v4, 0x4f800000, v5
	v_rcp_f32_e32 v4, v4
	v_mul_f32_e32 v4, 0x5f7ffffc, v4
	v_mul_f32_e32 v5, 0x2f800000, v4
	v_trunc_f32_e32 v5, v5
	v_mac_f32_e32 v4, 0xcf800000, v5
	v_cvt_u32_f32_e32 v5, v5
	v_cvt_u32_f32_e32 v4, v4
	v_mul_lo_u32 v6, s0, v5
	v_mul_hi_u32 v7, s0, v4
	v_mul_lo_u32 v13, s1, v4
	v_mul_lo_u32 v12, s0, v4
	v_add_u32_e32 v6, v7, v6
	v_add_u32_e32 v6, v6, v13
	v_mul_hi_u32 v7, v4, v12
	v_mul_lo_u32 v13, v4, v6
	v_mul_hi_u32 v15, v4, v6
	v_mul_hi_u32 v14, v5, v12
	v_mul_lo_u32 v12, v5, v12
	v_mul_hi_u32 v16, v5, v6
	v_add_co_u32_e32 v7, vcc, v7, v13
	v_addc_co_u32_e32 v13, vcc, 0, v15, vcc
	v_mul_lo_u32 v6, v5, v6
	v_add_co_u32_e32 v7, vcc, v7, v12
	v_addc_co_u32_e32 v7, vcc, v13, v14, vcc
	v_addc_co_u32_e32 v12, vcc, 0, v16, vcc
	v_add_co_u32_e32 v6, vcc, v7, v6
	v_addc_co_u32_e32 v7, vcc, 0, v12, vcc
	v_add_co_u32_e32 v4, vcc, v4, v6
	v_addc_co_u32_e32 v5, vcc, v5, v7, vcc
	v_mul_lo_u32 v6, s0, v5
	v_mul_hi_u32 v7, s0, v4
	v_mul_lo_u32 v12, s1, v4
	v_mul_lo_u32 v13, s0, v4
	v_add_u32_e32 v6, v7, v6
	v_add_u32_e32 v6, v6, v12
	v_mul_lo_u32 v14, v4, v6
	v_mul_hi_u32 v15, v4, v13
	v_mul_hi_u32 v16, v4, v6
	v_mul_hi_u32 v12, v5, v13
	v_mul_lo_u32 v13, v5, v13
	v_mul_hi_u32 v7, v5, v6
	v_add_co_u32_e32 v14, vcc, v15, v14
	v_addc_co_u32_e32 v15, vcc, 0, v16, vcc
	v_mul_lo_u32 v6, v5, v6
	v_add_co_u32_e32 v13, vcc, v14, v13
	v_addc_co_u32_e32 v12, vcc, v15, v12, vcc
	v_addc_co_u32_e32 v7, vcc, 0, v7, vcc
	v_add_co_u32_e32 v6, vcc, v12, v6
	v_addc_co_u32_e32 v7, vcc, 0, v7, vcc
	v_add_co_u32_e32 v6, vcc, v4, v6
	v_addc_co_u32_e32 v7, vcc, v5, v7, vcc
	v_mad_u64_u32 v[4:5], s[0:1], v10, v7, 0
	v_mul_hi_u32 v12, v10, v6
	v_add_co_u32_e32 v12, vcc, v12, v4
	v_addc_co_u32_e32 v13, vcc, 0, v5, vcc
	v_mad_u64_u32 v[4:5], s[0:1], v11, v6, 0
	v_mad_u64_u32 v[6:7], s[0:1], v11, v7, 0
	v_add_co_u32_e32 v4, vcc, v12, v4
	v_addc_co_u32_e32 v4, vcc, v13, v5, vcc
	v_addc_co_u32_e32 v5, vcc, 0, v7, vcc
	v_add_co_u32_e32 v7, vcc, v4, v6
	v_addc_co_u32_e32 v6, vcc, 0, v5, vcc
	v_mul_lo_u32 v12, s25, v7
	v_mul_lo_u32 v13, s24, v6
	v_mad_u64_u32 v[4:5], s[0:1], s24, v7, 0
	v_add3_u32 v5, v5, v13, v12
	v_sub_u32_e32 v12, v11, v5
	v_mov_b32_e32 v13, s25
	v_sub_co_u32_e32 v4, vcc, v10, v4
	v_subb_co_u32_e64 v12, s[0:1], v12, v13, vcc
	v_subrev_co_u32_e64 v13, s[0:1], s24, v4
	v_subbrev_co_u32_e64 v12, s[0:1], 0, v12, s[0:1]
	v_cmp_le_u32_e64 s[0:1], s25, v12
	v_cndmask_b32_e64 v14, 0, -1, s[0:1]
	v_cmp_le_u32_e64 s[0:1], s24, v13
	v_cndmask_b32_e64 v13, 0, -1, s[0:1]
	v_cmp_eq_u32_e64 s[0:1], s25, v12
	v_cndmask_b32_e64 v12, v14, v13, s[0:1]
	v_add_co_u32_e64 v13, s[0:1], 2, v7
	v_addc_co_u32_e64 v14, s[0:1], 0, v6, s[0:1]
	v_add_co_u32_e64 v15, s[0:1], 1, v7
	v_addc_co_u32_e64 v16, s[0:1], 0, v6, s[0:1]
	v_subb_co_u32_e32 v5, vcc, v11, v5, vcc
	v_cmp_ne_u32_e64 s[0:1], 0, v12
	v_cmp_le_u32_e32 vcc, s25, v5
	v_cndmask_b32_e64 v12, v16, v14, s[0:1]
	v_cndmask_b32_e64 v14, 0, -1, vcc
	v_cmp_le_u32_e32 vcc, s24, v4
	v_cndmask_b32_e64 v4, 0, -1, vcc
	v_cmp_eq_u32_e32 vcc, s25, v5
	v_cndmask_b32_e32 v4, v14, v4, vcc
	v_cmp_ne_u32_e32 vcc, 0, v4
	v_cndmask_b32_e64 v4, v15, v13, s[0:1]
	v_cndmask_b32_e32 v6, v6, v12, vcc
	v_cndmask_b32_e32 v5, v7, v4, vcc
.LBB0_4:                                ;   in Loop: Header=BB0_2 Depth=1
	s_andn2_saveexec_b64 s[0:1], s[26:27]
	s_cbranch_execz .LBB0_6
; %bb.5:                                ;   in Loop: Header=BB0_2 Depth=1
	v_cvt_f32_u32_e32 v4, s24
	s_sub_i32 s26, 0, s24
	v_rcp_iflag_f32_e32 v4, v4
	v_mul_f32_e32 v4, 0x4f7ffffe, v4
	v_cvt_u32_f32_e32 v4, v4
	v_mul_lo_u32 v5, s26, v4
	v_mul_hi_u32 v5, v4, v5
	v_add_u32_e32 v4, v4, v5
	v_mul_hi_u32 v4, v10, v4
	v_mul_lo_u32 v5, v4, s24
	v_add_u32_e32 v6, 1, v4
	v_sub_u32_e32 v5, v10, v5
	v_subrev_u32_e32 v7, s24, v5
	v_cmp_le_u32_e32 vcc, s24, v5
	v_cndmask_b32_e32 v5, v5, v7, vcc
	v_cndmask_b32_e32 v4, v4, v6, vcc
	v_add_u32_e32 v6, 1, v4
	v_cmp_le_u32_e32 vcc, s24, v5
	v_cndmask_b32_e32 v5, v4, v6, vcc
	v_mov_b32_e32 v6, v3
.LBB0_6:                                ;   in Loop: Header=BB0_2 Depth=1
	s_or_b64 exec, exec, s[0:1]
	v_mul_lo_u32 v4, v6, s24
	v_mul_lo_u32 v7, v5, s25
	v_mad_u64_u32 v[12:13], s[0:1], v5, s24, 0
	s_load_dwordx2 s[0:1], s[6:7], 0x0
	s_load_dwordx2 s[24:25], s[2:3], 0x0
	v_add3_u32 v4, v13, v7, v4
	v_sub_co_u32_e32 v7, vcc, v10, v12
	v_subb_co_u32_e32 v4, vcc, v11, v4, vcc
	s_waitcnt lgkmcnt(0)
	v_mul_lo_u32 v10, s0, v4
	v_mul_lo_u32 v11, s1, v7
	v_mad_u64_u32 v[8:9], s[0:1], s0, v7, v[8:9]
	s_add_u32 s22, s22, 1
	s_addc_u32 s23, s23, 0
	s_add_u32 s2, s2, 8
	v_mul_lo_u32 v4, s24, v4
	v_mul_lo_u32 v12, s25, v7
	v_mad_u64_u32 v[1:2], s[0:1], s24, v7, v[1:2]
	v_add3_u32 v9, v11, v9, v10
	s_addc_u32 s3, s3, 0
	v_mov_b32_e32 v10, s14
	s_add_u32 s6, s6, 8
	v_mov_b32_e32 v11, s15
	s_addc_u32 s7, s7, 0
	v_cmp_ge_u64_e32 vcc, s[22:23], v[10:11]
	s_add_u32 s20, s20, 8
	v_add3_u32 v2, v12, v2, v4
	s_addc_u32 s21, s21, 0
	s_cbranch_vccnz .LBB0_9
; %bb.7:                                ;   in Loop: Header=BB0_2 Depth=1
	v_mov_b32_e32 v11, v6
	v_mov_b32_e32 v10, v5
	s_branch .LBB0_2
.LBB0_8:
	v_mov_b32_e32 v1, v8
	v_mov_b32_e32 v5, v10
	;; [unrolled: 1-line block ×4, first 2 shown]
.LBB0_9:
	s_load_dwordx2 s[4:5], s[4:5], 0x28
	s_lshl_b64 s[6:7], s[14:15], 3
	s_add_u32 s2, s18, s6
	s_addc_u32 s3, s19, s7
                                        ; implicit-def: $sgpr18
                                        ; implicit-def: $sgpr14_sgpr15
                                        ; implicit-def: $vgpr7
	s_waitcnt lgkmcnt(0)
	v_cmp_gt_u64_e64 s[0:1], s[4:5], v[5:6]
	v_cmp_le_u64_e32 vcc, s[4:5], v[5:6]
	s_and_saveexec_b64 s[4:5], vcc
	s_xor_b64 s[4:5], exec, s[4:5]
; %bb.10:
	s_mov_b32 s14, 0x18d3019
	v_mul_hi_u32 v3, v0, s14
	s_mov_b64 s[14:15], 0
	s_mov_b32 s18, 0
                                        ; implicit-def: $vgpr8_vgpr9
	v_mul_u32_u24_e32 v3, 0xa5, v3
	v_sub_u32_e32 v7, v0, v3
                                        ; implicit-def: $vgpr0
; %bb.11:
	s_or_saveexec_b64 s[4:5], s[4:5]
	v_mov_b32_e32 v3, s14
	v_mov_b32_e32 v4, s15
	;; [unrolled: 1-line block ×3, first 2 shown]
                                        ; implicit-def: $vgpr11
                                        ; implicit-def: $vgpr12
                                        ; implicit-def: $vgpr13
                                        ; implicit-def: $vgpr15
                                        ; implicit-def: $vgpr14
                                        ; implicit-def: $vgpr17
                                        ; implicit-def: $vgpr16
                                        ; implicit-def: $vgpr19
                                        ; implicit-def: $vgpr18
                                        ; implicit-def: $vgpr20
	s_xor_b64 exec, exec, s[4:5]
	s_cbranch_execz .LBB0_13
; %bb.12:
	s_add_u32 s6, s16, s6
	s_addc_u32 s7, s17, s7
	s_load_dwordx2 s[6:7], s[6:7], 0x0
	s_mov_b32 s14, 0x18d3019
	v_mul_hi_u32 v7, v0, s14
	s_waitcnt lgkmcnt(0)
	v_mul_lo_u32 v10, s7, v5
	v_mul_lo_u32 v11, s6, v6
	v_mad_u64_u32 v[3:4], s[6:7], s6, v5, 0
	v_mul_u32_u24_e32 v7, 0xa5, v7
	v_sub_u32_e32 v7, v0, v7
	v_add3_u32 v4, v4, v11, v10
	v_lshlrev_b64 v[3:4], 2, v[3:4]
	v_mov_b32_e32 v0, s9
	v_add_co_u32_e32 v10, vcc, s8, v3
	v_addc_co_u32_e32 v0, vcc, v0, v4, vcc
	v_lshlrev_b64 v[3:4], 2, v[8:9]
	v_add_co_u32_e32 v3, vcc, v10, v3
	v_addc_co_u32_e32 v0, vcc, v0, v4, vcc
	v_lshlrev_b32_e32 v4, 2, v7
	v_add_co_u32_e32 v3, vcc, v3, v4
	v_addc_co_u32_e32 v4, vcc, 0, v0, vcc
	v_add_co_u32_e32 v8, vcc, 0x1000, v3
	v_addc_co_u32_e32 v9, vcc, 0, v4, vcc
	global_load_dword v10, v[3:4], off
	global_load_dword v18, v[3:4], off offset:660
	global_load_dword v16, v[3:4], off offset:1320
	;; [unrolled: 1-line block ×10, first 2 shown]
	v_mov_b32_e32 v8, 0
	v_mov_b32_e32 v3, v7
	;; [unrolled: 1-line block ×3, first 2 shown]
.LBB0_13:
	s_or_b64 exec, exec, s[4:5]
	s_waitcnt vmcnt(0)
	v_pk_add_f16 v0, v18, v20
	v_pk_add_f16 v8, v18, v20 neg_lo:[0,1] neg_hi:[0,1]
	s_movk_i32 s6, 0x3abb
	v_lshrrev_b32_e32 v9, 16, v0
	v_mul_f16_e32 v21, 0xb853, v8
	s_movk_i32 s4, 0x36a6
	v_mul_f16_e32 v23, 0xbb47, v8
	s_mov_b32 s5, 0xb08e
	v_mul_f16_e32 v25, 0xbbeb, v8
	s_mov_b32 s7, 0xb93d
	v_mul_f16_e32 v27, 0xba0c, v8
	v_fma_f16 v22, v9, s6, -v21
	v_fma_f16 v21, v9, s6, v21
	v_fma_f16 v24, v9, s4, -v23
	v_fma_f16 v23, v9, s4, v23
	;; [unrolled: 2-line block ×4, first 2 shown]
	v_pk_add_f16 v27, v16, v19
	v_pk_add_f16 v29, v16, v19 neg_lo:[0,1] neg_hi:[0,1]
	v_lshrrev_b32_e32 v30, 16, v27
	v_mul_f16_e32 v31, 0xbb47, v29
	v_mul_f16_e32 v33, 0xba0c, v29
	s_mov_b32 s8, 0xbbad
	v_mul_f16_e32 v35, 0x3482, v29
	v_mul_f16_e32 v37, 0x3beb, v29
	v_fma_f16 v32, v30, s4, -v31
	v_fma_f16 v31, v30, s4, v31
	v_fma_f16 v34, v30, s7, -v33
	v_fma_f16 v33, v30, s7, v33
	;; [unrolled: 2-line block ×4, first 2 shown]
	v_pk_add_f16 v37, v14, v17
	v_pk_add_f16 v39, v14, v17 neg_lo:[0,1] neg_hi:[0,1]
	v_pk_add_f16 v18, v18, v10
	v_lshrrev_b32_e32 v40, 16, v37
	v_mul_f16_e32 v41, 0xbbeb, v39
	v_mul_f16_e32 v43, 0x3482, v39
	;; [unrolled: 1-line block ×4, first 2 shown]
	v_pk_add_f16 v16, v16, v18
	v_fma_f16 v42, v40, s5, -v41
	v_fma_f16 v41, v40, s5, v41
	v_fma_f16 v44, v40, s8, -v43
	v_fma_f16 v43, v40, s8, v43
	;; [unrolled: 2-line block ×4, first 2 shown]
	v_pk_add_f16 v47, v13, v15
	v_pk_add_f16 v49, v13, v15 neg_lo:[0,1] neg_hi:[0,1]
	v_pk_add_f16 v14, v14, v16
	v_lshrrev_b32_e32 v50, 16, v47
	v_mul_f16_e32 v51, 0xba0c, v49
	v_mul_f16_e32 v53, 0x3beb, v49
	;; [unrolled: 1-line block ×4, first 2 shown]
	v_pk_add_f16 v13, v13, v14
	v_fma_f16 v52, v50, s7, -v51
	v_fma_f16 v51, v50, s7, v51
	v_fma_f16 v54, v50, s5, -v53
	v_fma_f16 v53, v50, s5, v53
	;; [unrolled: 2-line block ×4, first 2 shown]
	v_pk_add_f16 v57, v11, v12
	v_pk_add_f16 v59, v11, v12 neg_lo:[0,1] neg_hi:[0,1]
	v_pk_add_f16 v11, v11, v13
	v_pk_add_f16 v11, v12, v11
	;; [unrolled: 1-line block ×4, first 2 shown]
	s_mov_b32 s9, 0xb853
	s_mov_b32 s14, 0xbb47
	;; [unrolled: 1-line block ×5, first 2 shown]
	v_pk_add_f16 v11, v19, v11
	v_mul_f16_sdwa v12, v8, s9 dst_sel:DWORD dst_unused:UNUSED_PAD src0_sel:WORD_1 src1_sel:DWORD
	v_mul_f16_sdwa v14, v8, s14 dst_sel:DWORD dst_unused:UNUSED_PAD src0_sel:WORD_1 src1_sel:DWORD
	;; [unrolled: 1-line block ×4, first 2 shown]
	v_pk_mul_f16 v8, v8, s17 op_sel_hi:[1,0]
	v_pk_add_f16 v11, v20, v11
	v_fma_f16 v13, v0, s6, v12
	v_fma_f16 v12, v0, s6, -v12
	v_fma_f16 v15, v0, s4, v14
	v_fma_f16 v14, v0, s4, -v14
	;; [unrolled: 2-line block ×4, first 2 shown]
	v_pk_fma_f16 v20, v0, s8, v8 op_sel:[0,0,1] op_sel_hi:[1,0,0]
	v_pk_fma_f16 v0, v0, s8, v8 op_sel:[0,0,1] op_sel_hi:[1,0,0] neg_lo:[0,0,1] neg_hi:[0,0,1]
	v_add_f16_e32 v8, v13, v10
	v_add_f16_sdwa v13, v22, v10 dst_sel:DWORD dst_unused:UNUSED_PAD src0_sel:DWORD src1_sel:WORD_1
	v_add_f16_e32 v12, v12, v10
	v_add_f16_sdwa v21, v21, v10 dst_sel:DWORD dst_unused:UNUSED_PAD src0_sel:DWORD src1_sel:WORD_1
	;; [unrolled: 2-line block ×8, first 2 shown]
	v_pk_add_f16 v20, v20, v10
	v_pk_add_f16 v0, v0, v10
	v_mul_f16_sdwa v10, v29, s14 dst_sel:DWORD dst_unused:UNUSED_PAD src0_sel:WORD_1 src1_sel:DWORD
	v_fma_f16 v28, v27, s4, v10
	v_fma_f16 v10, v27, s4, -v10
	v_add_f16_e32 v10, v10, v12
	v_add_f16_e32 v12, v31, v21
	v_mul_f16_sdwa v21, v29, s16 dst_sel:DWORD dst_unused:UNUSED_PAD src0_sel:WORD_1 src1_sel:DWORD
	v_add_f16_e32 v8, v28, v8
	v_fma_f16 v28, v27, s7, v21
	v_fma_f16 v21, v27, s7, -v21
	s_movk_i32 s14, 0x3482
	v_add_f16_e32 v14, v21, v14
	v_add_f16_e32 v21, v33, v23
	v_mul_f16_sdwa v23, v29, s14 dst_sel:DWORD dst_unused:UNUSED_PAD src0_sel:WORD_1 src1_sel:DWORD
	v_add_f16_e32 v15, v28, v15
	v_fma_f16 v28, v27, s8, v23
	v_fma_f16 v23, v27, s8, -v23
	s_movk_i32 s18, 0x3beb
	;; [unrolled: 7-line block ×3, first 2 shown]
	v_add_f16_e32 v18, v25, v18
	v_pk_mul_f16 v25, v29, s19 op_sel_hi:[1,0]
	v_add_f16_e32 v19, v28, v19
	v_pk_fma_f16 v28, v27, s6, v25 op_sel:[0,0,1] op_sel_hi:[1,0,0]
	v_pk_fma_f16 v25, v27, s6, v25 op_sel:[0,0,1] op_sel_hi:[1,0,0] neg_lo:[0,0,1] neg_hi:[0,0,1]
	v_pk_add_f16 v0, v25, v0
	v_mul_f16_sdwa v25, v39, s15 dst_sel:DWORD dst_unused:UNUSED_PAD src0_sel:WORD_1 src1_sel:DWORD
	v_fma_f16 v27, v37, s5, v25
	v_fma_f16 v25, v37, s5, -v25
	v_add_f16_e32 v10, v25, v10
	v_mul_f16_sdwa v25, v39, s14 dst_sel:DWORD dst_unused:UNUSED_PAD src0_sel:WORD_1 src1_sel:DWORD
	v_add_f16_e32 v8, v27, v8
	v_fma_f16 v27, v37, s8, v25
	v_fma_f16 v25, v37, s8, -v25
	s_movk_i32 s14, 0x3b47
	v_add_f16_e32 v14, v25, v14
	v_mul_f16_sdwa v25, v39, s14 dst_sel:DWORD dst_unused:UNUSED_PAD src0_sel:WORD_1 src1_sel:DWORD
	v_add_f16_e32 v15, v27, v15
	v_fma_f16 v27, v37, s4, v25
	v_fma_f16 v25, v37, s4, -v25
	v_add_f16_e32 v16, v25, v16
	v_mul_f16_sdwa v25, v39, s9 dst_sel:DWORD dst_unused:UNUSED_PAD src0_sel:WORD_1 src1_sel:DWORD
	v_add_f16_e32 v17, v27, v17
	v_fma_f16 v27, v37, s6, v25
	v_fma_f16 v25, v37, s6, -v25
	v_add_f16_e32 v18, v25, v18
	v_pk_mul_f16 v25, v39, s16 op_sel_hi:[1,0]
	v_add_f16_e32 v19, v27, v19
	v_pk_fma_f16 v27, v37, s7, v25 op_sel:[0,0,1] op_sel_hi:[1,0,0]
	v_pk_fma_f16 v25, v37, s7, v25 op_sel:[0,0,1] op_sel_hi:[1,0,0] neg_lo:[0,0,1] neg_hi:[0,0,1]
	v_pk_add_f16 v20, v28, v20
	v_pk_add_f16 v0, v25, v0
	v_mul_f16_sdwa v25, v49, s16 dst_sel:DWORD dst_unused:UNUSED_PAD src0_sel:WORD_1 src1_sel:DWORD
	v_pk_add_f16 v20, v27, v20
	v_fma_f16 v27, v47, s7, v25
	v_fma_f16 v25, v47, s7, -v25
	v_add_f16_e32 v10, v25, v10
	v_mul_f16_sdwa v25, v49, s18 dst_sel:DWORD dst_unused:UNUSED_PAD src0_sel:WORD_1 src1_sel:DWORD
	v_add_f16_e32 v8, v27, v8
	v_fma_f16 v27, v47, s5, v25
	v_fma_f16 v25, v47, s5, -v25
	v_add_f16_e32 v14, v25, v14
	v_mul_f16_sdwa v25, v49, s9 dst_sel:DWORD dst_unused:UNUSED_PAD src0_sel:WORD_1 src1_sel:DWORD
	v_add_f16_e32 v15, v27, v15
	v_fma_f16 v27, v47, s6, v25
	v_add_f16_e32 v27, v27, v17
	v_fma_f16 v17, v47, s6, -v25
	v_add_f16_e32 v25, v17, v16
	v_mul_f16_sdwa v16, v49, s17 dst_sel:DWORD dst_unused:UNUSED_PAD src0_sel:WORD_1 src1_sel:DWORD
	v_fma_f16 v17, v47, s8, v16
	v_fma_f16 v16, v47, s8, -v16
	v_add_f16_e32 v18, v16, v18
	v_pk_mul_f16 v16, v49, s14 op_sel_hi:[1,0]
	v_add_f16_e32 v19, v17, v19
	v_pk_fma_f16 v17, v47, s4, v16 op_sel:[0,0,1] op_sel_hi:[1,0,0]
	v_pk_fma_f16 v16, v47, s4, v16 op_sel:[0,0,1] op_sel_hi:[1,0,0] neg_lo:[0,0,1] neg_hi:[0,0,1]
	v_pk_add_f16 v0, v16, v0
	v_mul_f16_sdwa v16, v59, s17 dst_sel:DWORD dst_unused:UNUSED_PAD src0_sel:WORD_1 src1_sel:DWORD
	v_lshrrev_b32_e32 v60, 16, v57
	v_mul_f16_e32 v61, 0xb482, v59
	v_add_f16_e32 v12, v41, v12
	v_pk_add_f16 v20, v17, v20
	v_fma_f16 v17, v57, s8, v16
	v_fma_f16 v16, v57, s8, -v16
	v_fma_f16 v62, v60, s8, -v61
	v_fma_f16 v61, v60, s8, v61
	v_add_f16_e32 v12, v51, v12
	v_add_f16_e32 v16, v16, v10
	v_mul_f16_sdwa v10, v59, s19 dst_sel:DWORD dst_unused:UNUSED_PAD src0_sel:WORD_1 src1_sel:DWORD
	v_mul_f16_e32 v63, 0x3853, v59
	v_add_f16_e32 v21, v43, v21
	v_add_f16_e32 v8, v17, v8
	;; [unrolled: 1-line block ×3, first 2 shown]
	v_fma_f16 v12, v57, s6, v10
	v_fma_f16 v10, v57, s6, -v10
	v_fma_f16 v64, v60, s6, -v63
	v_fma_f16 v63, v60, s6, v63
	v_add_f16_e32 v21, v53, v21
	v_add_f16_e32 v14, v10, v14
	v_mul_f16_sdwa v10, v59, s16 dst_sel:DWORD dst_unused:UNUSED_PAD src0_sel:WORD_1 src1_sel:DWORD
	v_add_f16_e32 v12, v12, v15
	v_add_f16_e32 v15, v63, v21
	v_fma_f16 v21, v57, s7, v10
	v_fma_f16 v10, v57, s7, -v10
	v_add_f16_e32 v10, v10, v25
	v_mul_f16_sdwa v25, v59, s14 dst_sel:DWORD dst_unused:UNUSED_PAD src0_sel:WORD_1 src1_sel:DWORD
	v_add_f16_e32 v13, v32, v13
	v_add_f16_e32 v22, v34, v22
	;; [unrolled: 1-line block ×3, first 2 shown]
	v_fma_f16 v27, v57, s4, v25
	v_fma_f16 v25, v57, s4, -v25
	v_add_f16_e32 v24, v36, v24
	v_add_f16_e32 v26, v38, v26
	;; [unrolled: 1-line block ×5, first 2 shown]
	v_pk_mul_f16 v25, v59, s15 op_sel_hi:[1,0]
	v_mul_f16_e32 v65, 0xba0c, v59
	v_mul_f16_e32 v67, 0x3b47, v59
	v_add_f16_e32 v24, v46, v24
	v_add_f16_e32 v26, v48, v26
	;; [unrolled: 1-line block ×5, first 2 shown]
	v_pk_fma_f16 v27, v57, s5, v25 op_sel:[0,0,1] op_sel_hi:[1,0,0]
	v_pk_fma_f16 v25, v57, s5, v25 op_sel:[0,0,1] op_sel_hi:[1,0,0] neg_lo:[0,0,1] neg_hi:[0,0,1]
	v_fma_f16 v66, v60, s7, -v65
	v_fma_f16 v68, v60, s4, -v67
	v_add_f16_e32 v9, v30, v9
	v_add_f16_e32 v24, v56, v24
	;; [unrolled: 1-line block ×5, first 2 shown]
	v_pk_add_f16 v0, v25, v0
	v_mad_u32_u24 v25, v7, 44, 0
	v_add_f16_e32 v23, v45, v23
	v_add_f16_e32 v9, v40, v9
	;; [unrolled: 1-line block ×4, first 2 shown]
	ds_write_b32 v25, v11
	v_pack_b32_f16 v11, v12, v22
	v_pack_b32_f16 v8, v8, v13
	v_fma_f16 v65, v60, s7, v65
	v_fma_f16 v60, v60, s4, v67
	v_add_f16_e32 v23, v55, v23
	v_add_f16_e32 v9, v50, v9
	v_pk_add_f16 v20, v27, v20
	ds_write2_b32 v25, v8, v11 offset0:1 offset1:2
	v_pack_b32_f16 v8, v19, v26
	v_pack_b32_f16 v11, v21, v24
	s_mov_b32 s4, 0xffff
	v_add_f16_e32 v23, v65, v23
	v_add_f16_e32 v9, v60, v9
	ds_write2_b32 v25, v11, v8 offset0:3 offset1:4
	v_bfi_b32 v8, s4, v0, v20
	v_bfi_b32 v0, s4, v20, v0
	ds_write2_b32 v25, v0, v8 offset0:5 offset1:6
	v_pack_b32_f16 v0, v10, v23
	v_pack_b32_f16 v8, v18, v9
	ds_write2_b32 v25, v8, v0 offset0:7 offset1:8
	v_pack_b32_f16 v0, v16, v17
	v_pack_b32_f16 v8, v14, v15
	s_movk_i32 s4, 0xffd8
	ds_write2_b32 v25, v8, v0 offset0:9 offset1:10
	v_mad_i32_i24 v0, v7, s4, v25
	v_add_u32_e32 v10, 0x900, v0
	v_add_u32_e32 v12, 0x1200, v0
	s_load_dwordx2 s[2:3], s[2:3], 0x0
	s_waitcnt lgkmcnt(0)
	s_barrier
	ds_read2_b32 v[8:9], v0 offset1:165
	ds_read2_b32 v[10:11], v10 offset0:29 offset1:194
	ds_read2_b32 v[12:13], v12 offset0:58 offset1:223
	ds_read_b32 v19, v0 offset:1320
	ds_read_b32 v21, v0 offset:3740
	;; [unrolled: 1-line block ×3, first 2 shown]
	v_mul_i32_i24_e32 v0, 0xffffffd8, v7
	s_movk_i32 s4, 0x6e
	v_cmp_gt_u32_e32 vcc, s4, v7
	v_add_u32_e32 v0, v25, v0
                                        ; implicit-def: $vgpr25
                                        ; implicit-def: $vgpr22
	s_and_saveexec_b64 s[4:5], vcc
	s_cbranch_execz .LBB0_15
; %bb.14:
	ds_read_b32 v14, v0 offset:1980
	ds_read_b32 v22, v0 offset:6820
	;; [unrolled: 1-line block ×3, first 2 shown]
	s_waitcnt lgkmcnt(2)
	v_lshrrev_b32_e32 v15, 16, v14
	s_waitcnt lgkmcnt(1)
	v_lshrrev_b32_e32 v25, 16, v22
	;; [unrolled: 2-line block ×3, first 2 shown]
.LBB0_15:
	s_or_b64 exec, exec, s[4:5]
	s_movk_i32 s4, 0x75
	v_mul_lo_u16_sdwa v23, v7, s4 dst_sel:DWORD dst_unused:UNUSED_PAD src0_sel:BYTE_0 src1_sel:DWORD
	v_sub_u16_sdwa v26, v7, v23 dst_sel:DWORD dst_unused:UNUSED_PAD src0_sel:DWORD src1_sel:BYTE_1
	v_lshrrev_b16_e32 v26, 1, v26
	v_add_u32_e32 v29, 0xa5, v7
	v_and_b32_e32 v26, 0x7f, v26
	s_mov_b32 s4, 0xba2f
	v_add_u16_sdwa v23, v26, v23 dst_sel:DWORD dst_unused:UNUSED_PAD src0_sel:DWORD src1_sel:BYTE_1
	v_mul_u32_u24_sdwa v26, v29, s4 dst_sel:DWORD dst_unused:UNUSED_PAD src0_sel:WORD_0 src1_sel:DWORD
	v_lshrrev_b16_e32 v28, 3, v23
	v_lshrrev_b32_e32 v37, 19, v26
	v_add_u32_e32 v18, 0x14a, v7
	v_mul_lo_u16_e32 v23, 11, v28
	v_mul_lo_u16_e32 v26, 11, v37
	v_sub_u16_e32 v36, v7, v23
	v_mov_b32_e32 v23, 3
	v_sub_u16_e32 v38, v29, v26
	v_mul_u32_u24_sdwa v31, v18, s4 dst_sel:DWORD dst_unused:UNUSED_PAD src0_sel:WORD_0 src1_sel:DWORD
	v_lshlrev_b32_sdwa v23, v23, v36 dst_sel:DWORD dst_unused:UNUSED_PAD src0_sel:DWORD src1_sel:BYTE_0
	v_lshlrev_b32_e32 v30, 3, v38
	v_lshrrev_b32_e32 v39, 19, v31
	v_add_u32_e32 v24, 0x1ef, v7
	global_load_dwordx2 v[26:27], v23, s[12:13]
	s_waitcnt lgkmcnt(4)
	v_lshrrev_b32_e32 v44, 16, v10
	global_load_dwordx2 v[30:31], v30, s[12:13]
	v_mul_lo_u16_e32 v23, 11, v39
	v_sub_u16_e32 v40, v18, v23
	v_mul_u32_u24_sdwa v23, v24, s4 dst_sel:DWORD dst_unused:UNUSED_PAD src0_sel:WORD_0 src1_sel:DWORD
	v_lshrrev_b32_e32 v23, 19, v23
	v_mul_lo_u16_e32 v34, 11, v23
	v_sub_u16_e32 v24, v24, v34
	v_lshlrev_b32_e32 v32, 3, v40
	v_lshlrev_b32_e32 v34, 3, v24
	global_load_dwordx2 v[32:33], v32, s[12:13]
	s_waitcnt lgkmcnt(3)
	v_lshrrev_b32_e32 v45, 16, v12
	global_load_dwordx2 v[34:35], v34, s[12:13]
	v_lshrrev_b32_e32 v46, 16, v11
	v_lshrrev_b32_e32 v47, 16, v13
	v_lshrrev_b32_e32 v41, 16, v8
	s_mov_b32 s4, 0xbaee
	s_movk_i32 s5, 0x3aee
	v_lshrrev_b32_e32 v42, 16, v9
	s_waitcnt lgkmcnt(1)
	v_lshrrev_b32_e32 v48, 16, v21
	s_waitcnt lgkmcnt(0)
	v_lshrrev_b32_e32 v49, 16, v20
	v_lshrrev_b32_e32 v43, 16, v19
	v_mul_u32_u24_e32 v28, 0x84, v28
	s_waitcnt vmcnt(0)
	s_barrier
	v_mul_f16_sdwa v50, v26, v44 dst_sel:DWORD dst_unused:UNUSED_PAD src0_sel:WORD_1 src1_sel:DWORD
	v_mul_f16_sdwa v51, v26, v10 dst_sel:DWORD dst_unused:UNUSED_PAD src0_sel:WORD_1 src1_sel:DWORD
	;; [unrolled: 1-line block ×7, first 2 shown]
	v_fma_f16 v50, v26, v10, v50
	v_fma_f16 v26, v26, v44, -v51
	v_fma_f16 v44, v27, v12, v52
	v_mul_f16_sdwa v57, v31, v13 dst_sel:DWORD dst_unused:UNUSED_PAD src0_sel:WORD_1 src1_sel:DWORD
	v_fma_f16 v27, v27, v45, -v53
	v_fma_f16 v45, v30, v11, v54
	v_mul_f16_sdwa v63, v16, v34 dst_sel:DWORD dst_unused:UNUSED_PAD src0_sel:DWORD src1_sel:WORD_1
	v_mul_f16_sdwa v62, v17, v34 dst_sel:DWORD dst_unused:UNUSED_PAD src0_sel:DWORD src1_sel:WORD_1
	;; [unrolled: 1-line block ×4, first 2 shown]
	v_fma_f16 v30, v30, v46, -v55
	v_fma_f16 v46, v31, v13, v56
	v_fma_f16 v12, v17, v34, -v63
	v_add_f16_e32 v17, v50, v44
	v_fma_f16 v31, v31, v47, -v57
	v_fma_f16 v10, v16, v34, v62
	v_fma_f16 v11, v22, v35, v64
	v_fma_f16 v13, v25, v35, -v65
	v_add_f16_e32 v16, v8, v50
	v_sub_f16_e32 v22, v26, v27
	v_add_f16_e32 v25, v41, v26
	v_add_f16_e32 v26, v26, v27
	;; [unrolled: 1-line block ×3, first 2 shown]
	v_fma_f16 v8, v17, -0.5, v8
	v_sub_f16_e32 v34, v50, v44
	v_add_f16_e32 v35, v9, v45
	v_add_f16_e32 v17, v25, v27
	v_fma_f16 v25, v26, -0.5, v41
	v_fma_f16 v9, v47, -0.5, v9
	v_fma_f16 v27, v22, s4, v8
	v_fma_f16 v8, v22, s5, v8
	v_sub_f16_e32 v22, v30, v31
	v_add_f16_e32 v26, v35, v46
	v_fma_f16 v35, v34, s5, v25
	v_fma_f16 v25, v34, s4, v25
	;; [unrolled: 1-line block ×4, first 2 shown]
	v_add_f16_e32 v22, v42, v30
	v_mul_f16_sdwa v58, v32, v48 dst_sel:DWORD dst_unused:UNUSED_PAD src0_sel:WORD_1 src1_sel:DWORD
	v_add_f16_e32 v41, v22, v31
	v_add_f16_e32 v22, v30, v31
	v_mul_f16_sdwa v59, v32, v21 dst_sel:DWORD dst_unused:UNUSED_PAD src0_sel:WORD_1 src1_sel:DWORD
	v_mul_f16_sdwa v60, v33, v49 dst_sel:DWORD dst_unused:UNUSED_PAD src0_sel:WORD_1 src1_sel:DWORD
	v_fma_f16 v21, v32, v21, v58
	v_fma_f16 v22, v22, -0.5, v42
	v_sub_f16_e32 v30, v45, v46
	v_mul_f16_sdwa v61, v33, v20 dst_sel:DWORD dst_unused:UNUSED_PAD src0_sel:WORD_1 src1_sel:DWORD
	v_fma_f16 v20, v33, v20, v60
	v_fma_f16 v31, v30, s5, v22
	;; [unrolled: 1-line block ×3, first 2 shown]
	v_add_f16_e32 v22, v19, v21
	v_fma_f16 v32, v32, v48, -v59
	v_fma_f16 v33, v33, v49, -v61
	v_add_f16_e32 v42, v22, v20
	v_add_f16_e32 v22, v21, v20
	v_fma_f16 v19, v22, -0.5, v19
	v_sub_f16_e32 v22, v32, v33
	v_add_f16_e32 v16, v16, v44
	v_fma_f16 v44, v22, s4, v19
	v_fma_f16 v45, v22, s5, v19
	v_add_f16_e32 v19, v43, v32
	v_add_f16_e32 v46, v19, v33
	;; [unrolled: 1-line block ×3, first 2 shown]
	v_fma_f16 v19, v19, -0.5, v43
	v_sub_f16_e32 v20, v21, v20
	v_fma_f16 v32, v20, s5, v19
	v_fma_f16 v33, v20, s4, v19
	v_add_f16_e32 v19, v10, v11
	v_fma_f16 v20, v19, -0.5, v14
	v_sub_f16_e32 v21, v12, v13
	v_fma_f16 v19, v21, s4, v20
	v_fma_f16 v21, v21, s5, v20
	v_add_f16_e32 v20, v12, v13
	v_fma_f16 v22, v20, -0.5, v15
	v_sub_f16_e32 v43, v10, v11
	v_fma_f16 v20, v43, s5, v22
	v_fma_f16 v22, v43, s4, v22
	v_mov_b32_e32 v43, 2
	v_lshlrev_b32_sdwa v36, v43, v36 dst_sel:DWORD dst_unused:UNUSED_PAD src0_sel:DWORD src1_sel:BYTE_0
	v_add3_u32 v28, 0, v28, v36
	v_pack_b32_f16 v16, v16, v17
	v_pack_b32_f16 v17, v27, v35
	;; [unrolled: 1-line block ×3, first 2 shown]
	ds_write2_b32 v28, v16, v17 offset1:11
	ds_write_b32 v28, v8 offset:88
	v_mul_u32_u24_e32 v8, 0x84, v37
	v_lshlrev_b32_e32 v16, 2, v38
	v_add3_u32 v8, 0, v8, v16
	v_pack_b32_f16 v16, v26, v41
	v_pack_b32_f16 v17, v34, v31
	;; [unrolled: 1-line block ×3, first 2 shown]
	ds_write2_b32 v8, v16, v17 offset1:11
	ds_write_b32 v8, v9 offset:88
	v_mul_u32_u24_e32 v8, 0x84, v39
	v_lshlrev_b32_e32 v9, 2, v40
	v_add3_u32 v8, 0, v8, v9
	v_pack_b32_f16 v9, v42, v46
	v_pack_b32_f16 v16, v44, v32
	ds_write2_b32 v8, v9, v16 offset1:11
	v_pack_b32_f16 v9, v45, v33
	ds_write_b32 v8, v9 offset:88
	s_and_saveexec_b64 s[4:5], vcc
	s_cbranch_execz .LBB0_17
; %bb.16:
	v_add_f16_e32 v8, v15, v12
	v_add_f16_e32 v9, v14, v10
	v_mul_lo_u16_e32 v10, 33, v23
	v_add_f16_e32 v8, v8, v13
	v_add_f16_e32 v9, v9, v11
	v_lshlrev_b32_e32 v11, 2, v24
	v_lshlrev_b32_e32 v10, 2, v10
	s_mov_b32 s6, 0x5040100
	v_add3_u32 v10, 0, v11, v10
	v_pack_b32_f16 v8, v9, v8
	v_perm_b32 v9, v20, v19, s6
	ds_write2_b32 v10, v8, v9 offset1:11
	v_perm_b32 v8, v22, v21, s6
	ds_write_b32 v10, v8 offset:88
.LBB0_17:
	s_or_b64 exec, exec, s[4:5]
	v_add_u32_e32 v10, 0x500, v0
	v_add_u32_e32 v12, 0xa00, v0
	;; [unrolled: 1-line block ×4, first 2 shown]
	s_waitcnt lgkmcnt(0)
	s_barrier
	ds_read2_b32 v[8:9], v0 offset1:165
	ds_read2_b32 v[10:11], v10 offset0:43 offset1:208
	ds_read2_b32 v[12:13], v12 offset0:86 offset1:251
	;; [unrolled: 1-line block ×4, first 2 shown]
	v_cmp_gt_u32_e32 vcc, 33, v7
                                        ; implicit-def: $vgpr26
                                        ; implicit-def: $vgpr24
                                        ; implicit-def: $vgpr27
                                        ; implicit-def: $vgpr25
                                        ; implicit-def: $vgpr28
                                        ; implicit-def: $vgpr23
	s_and_saveexec_b64 s[4:5], vcc
	s_cbranch_execz .LBB0_19
; %bb.18:
	ds_read_b32 v19, v0 offset:1320
	ds_read_b32 v21, v0 offset:2772
	;; [unrolled: 1-line block ×5, first 2 shown]
	s_waitcnt lgkmcnt(4)
	v_lshrrev_b32_e32 v20, 16, v19
	s_waitcnt lgkmcnt(3)
	v_lshrrev_b32_e32 v22, 16, v21
	;; [unrolled: 2-line block ×5, first 2 shown]
.LBB0_19:
	s_or_b64 exec, exec, s[4:5]
	s_movk_i32 s4, 0xf9
	v_mul_lo_u16_sdwa v30, v7, s4 dst_sel:DWORD dst_unused:UNUSED_PAD src0_sel:BYTE_0 src1_sel:DWORD
	s_mov_b32 s15, 0xf83f
	v_lshrrev_b16_e32 v38, 13, v30
	v_mul_u32_u24_sdwa v34, v29, s15 dst_sel:DWORD dst_unused:UNUSED_PAD src0_sel:WORD_0 src1_sel:DWORD
	v_mul_lo_u16_e32 v30, 33, v38
	v_lshrrev_b32_e32 v40, 21, v34
	v_sub_u16_e32 v39, v7, v30
	v_mov_b32_e32 v30, 4
	v_mul_lo_u16_e32 v34, 33, v40
	v_lshlrev_b32_sdwa v30, v30, v39 dst_sel:DWORD dst_unused:UNUSED_PAD src0_sel:DWORD src1_sel:BYTE_0
	v_sub_u16_e32 v29, v29, v34
	global_load_dwordx4 v[30:33], v30, s[12:13] offset:88
	v_lshlrev_b32_e32 v34, 4, v29
	global_load_dwordx4 v[34:37], v34, s[12:13] offset:88
	s_waitcnt lgkmcnt(3)
	v_lshrrev_b32_e32 v43, 16, v10
	s_waitcnt lgkmcnt(2)
	v_lshrrev_b32_e32 v44, 16, v12
	;; [unrolled: 2-line block ×4, first 2 shown]
	v_mov_b32_e32 v51, 2
	v_lshrrev_b32_e32 v49, 16, v15
	v_lshlrev_b32_sdwa v39, v51, v39 dst_sel:DWORD dst_unused:UNUSED_PAD src0_sel:DWORD src1_sel:BYTE_0
	v_lshrrev_b32_e32 v47, 16, v11
	v_lshrrev_b32_e32 v48, 16, v13
	;; [unrolled: 1-line block ×4, first 2 shown]
	s_mov_b32 s8, 0xbb9c
	s_movk_i32 s14, 0x3b9c
	s_mov_b32 s7, 0xb8b4
	s_movk_i32 s9, 0x38b4
	s_movk_i32 s6, 0x34f2
	v_lshrrev_b32_e32 v42, 16, v9
	s_waitcnt vmcnt(0)
	s_barrier
	v_lshlrev_b32_e32 v29, 2, v29
	v_mul_f16_sdwa v51, v30, v43 dst_sel:DWORD dst_unused:UNUSED_PAD src0_sel:WORD_1 src1_sel:DWORD
	v_mul_f16_sdwa v53, v31, v44 dst_sel:DWORD dst_unused:UNUSED_PAD src0_sel:WORD_1 src1_sel:DWORD
	;; [unrolled: 1-line block ×10, first 2 shown]
	v_fma_f16 v10, v30, v10, v51
	v_fma_f16 v12, v31, v12, v53
	;; [unrolled: 1-line block ×4, first 2 shown]
	v_mul_f16_sdwa v59, v34, v47 dst_sel:DWORD dst_unused:UNUSED_PAD src0_sel:WORD_1 src1_sel:DWORD
	v_mul_f16_sdwa v60, v34, v11 dst_sel:DWORD dst_unused:UNUSED_PAD src0_sel:WORD_1 src1_sel:DWORD
	;; [unrolled: 1-line block ×6, first 2 shown]
	v_fma_f16 v30, v30, v43, -v52
	v_fma_f16 v31, v31, v44, -v54
	;; [unrolled: 1-line block ×4, first 2 shown]
	v_fma_f16 v15, v36, v15, v63
	v_fma_f16 v36, v36, v49, -v64
	v_add_f16_e32 v44, v12, v14
	v_add_f16_e32 v49, v10, v16
	v_fma_f16 v11, v34, v11, v59
	v_fma_f16 v34, v34, v47, -v60
	v_fma_f16 v13, v35, v13, v61
	v_fma_f16 v35, v35, v48, -v62
	;; [unrolled: 2-line block ×3, first 2 shown]
	v_add_f16_e32 v43, v8, v10
	v_sub_f16_e32 v45, v30, v33
	v_sub_f16_e32 v46, v31, v32
	;; [unrolled: 1-line block ×6, first 2 shown]
	v_fma_f16 v44, v44, -0.5, v8
	v_fma_f16 v8, v49, -0.5, v8
	v_add_f16_e32 v47, v47, v48
	v_add_f16_e32 v48, v50, v51
	v_fma_f16 v49, v45, s8, v44
	v_fma_f16 v44, v45, s14, v44
	;; [unrolled: 1-line block ×8, first 2 shown]
	v_add_f16_e32 v43, v43, v12
	v_fma_f16 v46, v48, s6, v46
	v_fma_f16 v8, v48, s6, v8
	v_add_f16_e32 v48, v31, v32
	v_add_f16_e32 v43, v43, v14
	v_fma_f16 v48, v48, -0.5, v41
	v_sub_f16_e32 v10, v10, v16
	v_add_f16_e32 v43, v43, v16
	v_fma_f16 v16, v10, s14, v48
	v_sub_f16_e32 v12, v12, v14
	v_fma_f16 v45, v47, s6, v49
	v_fma_f16 v14, v12, s9, v16
	v_sub_f16_e32 v16, v30, v31
	v_sub_f16_e32 v49, v33, v32
	v_fma_f16 v48, v10, s8, v48
	v_add_f16_e32 v16, v16, v49
	v_fma_f16 v48, v12, s7, v48
	v_fma_f16 v14, v16, s6, v14
	;; [unrolled: 1-line block ×3, first 2 shown]
	v_add_f16_e32 v48, v30, v33
	v_fma_f16 v44, v47, s6, v44
	v_add_f16_e32 v47, v41, v30
	v_fma_f16 v41, v48, -0.5, v41
	v_add_f16_e32 v47, v47, v31
	v_fma_f16 v48, v12, s8, v41
	v_sub_f16_e32 v30, v31, v30
	v_sub_f16_e32 v31, v32, v33
	v_fma_f16 v12, v12, s14, v41
	v_fma_f16 v48, v10, s9, v48
	v_add_f16_e32 v30, v30, v31
	v_fma_f16 v10, v10, s7, v12
	v_fma_f16 v31, v30, s6, v48
	v_fma_f16 v10, v30, s6, v10
	v_add_f16_e32 v30, v13, v15
	v_add_f16_e32 v47, v47, v32
	v_fma_f16 v30, v30, -0.5, v9
	v_sub_f16_e32 v32, v34, v37
	v_add_f16_e32 v47, v47, v33
	v_fma_f16 v33, v32, s8, v30
	v_sub_f16_e32 v41, v35, v36
	v_sub_f16_e32 v48, v11, v13
	;; [unrolled: 1-line block ×3, first 2 shown]
	v_fma_f16 v30, v32, s14, v30
	v_fma_f16 v33, v41, s7, v33
	v_add_f16_e32 v48, v48, v49
	v_fma_f16 v30, v41, s9, v30
	v_fma_f16 v33, v48, s6, v33
	;; [unrolled: 1-line block ×3, first 2 shown]
	v_add_f16_e32 v48, v11, v17
	v_add_f16_e32 v12, v9, v11
	v_fma_f16 v9, v48, -0.5, v9
	v_add_f16_e32 v12, v12, v13
	v_fma_f16 v48, v41, s14, v9
	v_fma_f16 v9, v41, s8, v9
	v_add_f16_e32 v41, v35, v36
	v_add_f16_e32 v12, v12, v15
	v_sub_f16_e32 v49, v13, v11
	v_sub_f16_e32 v50, v15, v17
	v_fma_f16 v41, v41, -0.5, v42
	v_sub_f16_e32 v11, v11, v17
	v_add_f16_e32 v12, v12, v17
	v_fma_f16 v48, v32, s7, v48
	v_add_f16_e32 v49, v49, v50
	v_fma_f16 v9, v32, s9, v9
	v_fma_f16 v17, v11, s14, v41
	v_sub_f16_e32 v13, v13, v15
	v_fma_f16 v48, v49, s6, v48
	v_fma_f16 v9, v49, s6, v9
	;; [unrolled: 1-line block ×3, first 2 shown]
	v_sub_f16_e32 v17, v34, v35
	v_sub_f16_e32 v49, v37, v36
	v_fma_f16 v41, v11, s8, v41
	v_add_f16_e32 v17, v17, v49
	v_fma_f16 v41, v13, s7, v41
	v_fma_f16 v15, v17, s6, v15
	v_fma_f16 v17, v17, s6, v41
	v_add_f16_e32 v41, v34, v37
	v_add_f16_e32 v32, v42, v34
	v_fma_f16 v41, v41, -0.5, v42
	v_add_f16_e32 v32, v32, v35
	v_fma_f16 v42, v13, s8, v41
	v_sub_f16_e32 v34, v35, v34
	v_sub_f16_e32 v35, v36, v37
	v_fma_f16 v13, v13, s14, v41
	v_fma_f16 v42, v11, s9, v42
	v_add_f16_e32 v34, v34, v35
	v_fma_f16 v11, v11, s7, v13
	v_mul_u32_u24_e32 v13, 0x294, v38
	v_fma_f16 v35, v34, s6, v42
	v_fma_f16 v11, v34, s6, v11
	v_add3_u32 v13, 0, v13, v39
	v_pack_b32_f16 v34, v43, v47
	v_pack_b32_f16 v14, v45, v14
	ds_write2_b32 v13, v34, v14 offset1:33
	v_pack_b32_f16 v14, v46, v31
	v_pack_b32_f16 v8, v8, v10
	v_add_f16_e32 v32, v32, v36
	ds_write2_b32 v13, v14, v8 offset0:66 offset1:99
	v_pack_b32_f16 v8, v44, v16
	v_add_f16_e32 v32, v32, v37
	ds_write_b32 v13, v8 offset:528
	v_mul_u32_u24_e32 v8, 0x294, v40
	v_add3_u32 v8, 0, v8, v29
	v_pack_b32_f16 v10, v12, v32
	v_pack_b32_f16 v12, v33, v15
	ds_write2_b32 v8, v10, v12 offset1:33
	v_pack_b32_f16 v10, v48, v35
	v_pack_b32_f16 v9, v9, v11
	ds_write2_b32 v8, v10, v9 offset0:66 offset1:99
	v_pack_b32_f16 v9, v30, v17
	ds_write_b32 v8, v9 offset:528
	s_and_saveexec_b64 s[4:5], vcc
	s_cbranch_execz .LBB0_21
; %bb.20:
	v_mul_u32_u24_sdwa v8, v18, s15 dst_sel:DWORD dst_unused:UNUSED_PAD src0_sel:WORD_0 src1_sel:DWORD
	v_lshrrev_b32_e32 v8, 21, v8
	v_mul_lo_u16_e32 v8, 33, v8
	v_sub_u16_e32 v12, v18, v8
	v_lshlrev_b32_e32 v8, 4, v12
	global_load_dwordx4 v[8:11], v8, s[12:13] offset:88
	v_lshl_add_u32 v12, v12, 2, 0
	v_add_u32_e32 v13, 0x1800, v12
	s_waitcnt vmcnt(0)
	v_mul_f16_sdwa v14, v23, v9 dst_sel:DWORD dst_unused:UNUSED_PAD src0_sel:DWORD src1_sel:WORD_1
	v_mul_f16_sdwa v15, v21, v8 dst_sel:DWORD dst_unused:UNUSED_PAD src0_sel:DWORD src1_sel:WORD_1
	v_mul_f16_sdwa v16, v25, v10 dst_sel:DWORD dst_unused:UNUSED_PAD src0_sel:DWORD src1_sel:WORD_1
	v_mul_f16_sdwa v17, v24, v11 dst_sel:DWORD dst_unused:UNUSED_PAD src0_sel:DWORD src1_sel:WORD_1
	v_mul_f16_sdwa v18, v28, v9 dst_sel:DWORD dst_unused:UNUSED_PAD src0_sel:DWORD src1_sel:WORD_1
	v_mul_f16_sdwa v29, v27, v10 dst_sel:DWORD dst_unused:UNUSED_PAD src0_sel:DWORD src1_sel:WORD_1
	v_mul_f16_sdwa v30, v22, v8 dst_sel:DWORD dst_unused:UNUSED_PAD src0_sel:DWORD src1_sel:WORD_1
	v_mul_f16_sdwa v31, v26, v11 dst_sel:DWORD dst_unused:UNUSED_PAD src0_sel:DWORD src1_sel:WORD_1
	v_fma_f16 v14, v28, v9, -v14
	v_fma_f16 v15, v22, v8, -v15
	;; [unrolled: 1-line block ×4, first 2 shown]
	v_fma_f16 v9, v23, v9, v18
	v_fma_f16 v10, v25, v10, v29
	;; [unrolled: 1-line block ×4, first 2 shown]
	v_sub_f16_e32 v18, v14, v15
	v_sub_f16_e32 v21, v16, v17
	v_add_f16_e32 v23, v15, v17
	v_sub_f16_e32 v25, v15, v14
	v_sub_f16_e32 v26, v17, v16
	v_add_f16_e32 v27, v14, v16
	v_add_f16_e32 v31, v8, v11
	;; [unrolled: 1-line block ×3, first 2 shown]
	v_sub_f16_e32 v22, v9, v10
	v_sub_f16_e32 v24, v8, v11
	v_add_f16_e32 v28, v20, v15
	v_sub_f16_e32 v29, v9, v8
	v_sub_f16_e32 v30, v10, v11
	;; [unrolled: 1-line block ×4, first 2 shown]
	v_add_f16_e32 v8, v19, v8
	v_add_f16_e32 v18, v18, v21
	v_fma_f16 v21, v23, -0.5, v20
	v_add_f16_e32 v23, v25, v26
	v_fma_f16 v20, v27, -0.5, v20
	v_fma_f16 v26, v31, -0.5, v19
	;; [unrolled: 1-line block ×3, first 2 shown]
	v_sub_f16_e32 v32, v14, v16
	v_sub_f16_e32 v34, v11, v10
	v_add_f16_e32 v14, v28, v14
	v_add_f16_e32 v25, v29, v30
	;; [unrolled: 1-line block ×3, first 2 shown]
	v_fma_f16 v9, v22, s14, v21
	v_fma_f16 v21, v22, s8, v21
	;; [unrolled: 1-line block ×6, first 2 shown]
	v_add_f16_e32 v27, v33, v34
	v_add_f16_e32 v14, v14, v16
	v_fma_f16 v16, v32, s8, v26
	v_fma_f16 v26, v32, s14, v26
	v_add_f16_e32 v8, v8, v10
	v_fma_f16 v9, v24, s7, v9
	v_fma_f16 v10, v24, s9, v21
	v_fma_f16 v20, v22, s9, v20
	v_fma_f16 v19, v32, s7, v19
	v_fma_f16 v21, v22, s7, v28
	v_add_f16_e32 v14, v14, v17
	v_fma_f16 v16, v15, s9, v16
	v_fma_f16 v15, v15, s7, v26
	;; [unrolled: 1-line block ×3, first 2 shown]
	v_add_f16_e32 v8, v8, v11
	v_fma_f16 v9, v18, s6, v9
	v_fma_f16 v10, v18, s6, v10
	;; [unrolled: 1-line block ×8, first 2 shown]
	v_pack_b32_f16 v8, v8, v14
	v_pack_b32_f16 v14, v19, v18
	;; [unrolled: 1-line block ×5, first 2 shown]
	ds_write2_b32 v13, v8, v14 offset0:114 offset1:147
	ds_write2_b32 v13, v10, v9 offset0:180 offset1:213
	ds_write_b32 v12, v11 offset:7128
.LBB0_21:
	s_or_b64 exec, exec, s[4:5]
	s_waitcnt lgkmcnt(0)
	s_barrier
	s_and_saveexec_b64 s[4:5], s[0:1]
	s_cbranch_execz .LBB0_23
; %bb.22:
	v_mul_u32_u24_e32 v8, 10, v7
	v_lshlrev_b32_e32 v18, 2, v8
	global_load_dwordx2 v[16:17], v18, s[12:13] offset:648
	global_load_dwordx4 v[8:11], v18, s[12:13] offset:616
	global_load_dwordx4 v[12:15], v18, s[12:13] offset:632
	ds_read2_b32 v[18:19], v0 offset1:165
	v_mul_lo_u32 v26, s3, v5
	v_mul_lo_u32 v27, s2, v6
	v_mad_u64_u32 v[5:6], s[0:1], s2, v5, 0
	v_add_u32_e32 v20, 0x1400, v0
	v_lshl_add_u32 v7, v7, 2, 0
	v_add_u32_e32 v22, 0xf00, v0
	v_add_u32_e32 v24, 0xa00, v0
	ds_read2_b32 v[20:21], v20 offset0:40 offset1:205
	ds_read_b32 v28, v0 offset:6600
	ds_read_b32 v0, v0 offset:1320
	ds_read_b32 v7, v7 offset:1980
	ds_read2_b32 v[22:23], v22 offset0:30 offset1:195
	ds_read2_b32 v[24:25], v24 offset0:20 offset1:185
	v_add3_u32 v6, v6, v27, v26
	s_waitcnt lgkmcnt(4)
	v_lshrrev_b32_e32 v26, 16, v28
	v_lshrrev_b32_e32 v27, 16, v19
	s_waitcnt lgkmcnt(3)
	v_lshrrev_b32_e32 v29, 16, v0
	v_lshrrev_b32_e32 v30, 16, v21
	;; [unrolled: 1-line block ×3, first 2 shown]
	s_waitcnt lgkmcnt(2)
	v_lshrrev_b32_e32 v32, 16, v7
	s_movk_i32 s4, 0x3482
	s_waitcnt lgkmcnt(1)
	v_lshrrev_b32_e32 v33, 16, v23
	s_waitcnt lgkmcnt(0)
	v_lshrrev_b32_e32 v34, 16, v24
	s_mov_b32 s3, 0xb853
	s_movk_i32 s9, 0x3a0c
	s_mov_b32 s7, 0xbb47
	s_movk_i32 s12, 0x3beb
	s_mov_b32 s0, 0xbbad
	s_movk_i32 s1, 0x3abb
	s_mov_b32 s2, 0xb93d
	s_movk_i32 s5, 0x36a6
	s_mov_b32 s6, 0xb08e
	s_mov_b32 s14, 0xbbeb
	s_movk_i32 s13, 0x3853
	s_mov_b32 s8, 0xb482
	s_movk_i32 s15, 0x3b47
	v_lshlrev_b64 v[5:6], 2, v[5:6]
	v_add_co_u32_e32 v5, vcc, s10, v5
	s_waitcnt vmcnt(2)
	v_lshrrev_b32_e32 v36, 16, v17
	v_lshrrev_b32_e32 v35, 16, v16
	s_waitcnt vmcnt(1)
	v_mul_f16_sdwa v37, v8, v19 dst_sel:DWORD dst_unused:UNUSED_PAD src0_sel:WORD_1 src1_sel:DWORD
	v_mul_f16_e32 v39, v17, v28
	v_mul_f16_e32 v28, v36, v28
	v_mul_f16_sdwa v38, v8, v27 dst_sel:DWORD dst_unused:UNUSED_PAD src0_sel:WORD_1 src1_sel:DWORD
	v_mul_f16_sdwa v40, v9, v0 dst_sel:DWORD dst_unused:UNUSED_PAD src0_sel:WORD_1 src1_sel:DWORD
	v_mul_f16_e32 v42, v16, v21
	s_waitcnt vmcnt(0)
	v_lshrrev_b32_e32 v45, 16, v15
	v_fma_f16 v27, v8, v27, -v37
	v_mul_f16_e32 v21, v35, v21
	v_fma_f16 v17, v17, v26, -v28
	v_mul_f16_sdwa v41, v9, v29 dst_sel:DWORD dst_unused:UNUSED_PAD src0_sel:WORD_1 src1_sel:DWORD
	v_lshrrev_b32_e32 v44, 16, v14
	v_mul_f16_sdwa v46, v10, v7 dst_sel:DWORD dst_unused:UNUSED_PAD src0_sel:WORD_1 src1_sel:DWORD
	v_mul_f16_e32 v48, v15, v20
	v_fma_f16 v8, v8, v19, v38
	v_fma_f16 v19, v26, v36, v39
	v_fma_f16 v29, v9, v29, -v40
	v_mul_f16_e32 v20, v45, v20
	v_fma_f16 v16, v16, v30, -v21
	v_add_f16_e32 v28, v17, v27
	v_mul_f16_sdwa v47, v10, v32 dst_sel:DWORD dst_unused:UNUSED_PAD src0_sel:WORD_1 src1_sel:DWORD
	v_mul_f16_sdwa v49, v11, v24 dst_sel:DWORD dst_unused:UNUSED_PAD src0_sel:WORD_1 src1_sel:DWORD
	v_mul_f16_e32 v51, v14, v23
	v_fma_f16 v0, v9, v0, v41
	v_fma_f16 v9, v30, v35, v42
	v_fma_f16 v32, v10, v32, -v46
	v_mul_f16_e32 v23, v44, v23
	v_sub_f16_e32 v26, v8, v19
	v_fma_f16 v15, v15, v31, -v20
	v_add_f16_e32 v30, v16, v29
	v_mul_f16_e32 v35, 0xbbad, v28
	v_mul_f16_sdwa v50, v11, v34 dst_sel:DWORD dst_unused:UNUSED_PAD src0_sel:WORD_1 src1_sel:DWORD
	v_fma_f16 v7, v10, v7, v47
	v_fma_f16 v10, v31, v45, v48
	v_fma_f16 v34, v11, v34, -v49
	v_sub_f16_e32 v21, v0, v9
	v_fma_f16 v14, v14, v33, -v23
	v_add_f16_e32 v31, v15, v32
	v_mul_f16_e32 v36, 0x3abb, v30
	v_fma_f16 v39, v26, s4, v35
	v_fma_f16 v11, v11, v24, v50
	;; [unrolled: 1-line block ×3, first 2 shown]
	v_sub_f16_e32 v20, v7, v10
	v_add_f16_e32 v33, v14, v34
	v_mul_f16_e32 v37, 0xb93d, v31
	v_fma_f16 v40, v21, s3, v36
	v_add_f16_sdwa v39, v39, v18 dst_sel:DWORD dst_unused:UNUSED_PAD src0_sel:DWORD src1_sel:WORD_1
	v_sub_f16_e32 v23, v11, v24
	v_mul_f16_e32 v38, 0x36a6, v33
	v_fma_f16 v41, v20, s9, v37
	v_add_f16_e32 v39, v39, v40
	v_lshrrev_b32_e32 v43, 16, v13
	v_add_f16_e32 v39, v39, v41
	v_fma_f16 v40, v23, s7, v38
	v_add_f16_e32 v39, v39, v40
	v_lshrrev_b32_e32 v40, 16, v22
	v_mul_f16_e32 v41, v43, v22
	v_lshrrev_b32_e32 v42, 16, v25
	v_mul_f16_sdwa v44, v12, v25 dst_sel:DWORD dst_unused:UNUSED_PAD src0_sel:WORD_1 src1_sel:DWORD
	v_fma_f16 v41, v13, v40, -v41
	v_fma_f16 v44, v12, v42, -v44
	v_mul_f16_sdwa v42, v12, v42 dst_sel:DWORD dst_unused:UNUSED_PAD src0_sel:WORD_1 src1_sel:DWORD
	v_mul_f16_e32 v13, v13, v22
	v_add_f16_e32 v45, v41, v44
	v_fma_f16 v12, v12, v25, v42
	v_fma_f16 v13, v40, v43, v13
	v_mul_f16_e32 v46, 0xb08e, v45
	v_sub_f16_e32 v22, v12, v13
	v_fma_f16 v25, v22, s12, v46
	v_sub_f16_e32 v40, v27, v17
	v_add_f16_e32 v25, v39, v25
	v_add_f16_e32 v39, v19, v8
	v_mul_f16_e32 v42, 0xb482, v40
	v_sub_f16_e32 v48, v29, v16
	v_fma_f16 v43, v39, s0, v42
	v_add_f16_e32 v47, v9, v0
	v_mul_f16_e32 v49, 0x3853, v48
	v_add_f16_e32 v43, v43, v18
	v_fma_f16 v50, v47, s1, v49
	v_sub_f16_e32 v51, v32, v15
	v_add_f16_e32 v43, v43, v50
	v_add_f16_e32 v50, v10, v7
	v_mul_f16_e32 v52, 0xba0c, v51
	v_fma_f16 v53, v50, s2, v52
	v_sub_f16_e32 v54, v34, v14
	v_add_f16_e32 v43, v43, v53
	v_add_f16_e32 v53, v24, v11
	v_mul_f16_e32 v55, 0x3b47, v54
	;; [unrolled: 5-line block ×3, first 2 shown]
	v_fma_f16 v59, v56, s6, v58
	v_add_f16_e32 v43, v43, v59
	v_mul_f16_e32 v59, 0xb93d, v28
	v_fma_f16 v60, v26, s9, v59
	v_mul_f16_e32 v61, 0xb08e, v30
	v_add_f16_sdwa v60, v60, v18 dst_sel:DWORD dst_unused:UNUSED_PAD src0_sel:DWORD src1_sel:WORD_1
	v_fma_f16 v62, v21, s14, v61
	v_add_f16_e32 v60, v60, v62
	v_mul_f16_e32 v62, 0x3abb, v31
	v_fma_f16 v63, v20, s13, v62
	v_add_f16_e32 v60, v60, v63
	v_mul_f16_e32 v63, 0xbbad, v33
	;; [unrolled: 3-line block ×4, first 2 shown]
	v_fma_f16 v66, v39, s2, v65
	v_mul_f16_e32 v67, 0x3beb, v48
	v_add_f16_e32 v66, v66, v18
	v_fma_f16 v68, v47, s6, v67
	v_add_f16_e32 v66, v66, v68
	v_mul_f16_e32 v68, 0xb853, v51
	v_fma_f16 v69, v50, s1, v68
	v_add_f16_e32 v66, v66, v69
	v_mul_f16_e32 v69, 0xb482, v54
	;; [unrolled: 3-line block ×4, first 2 shown]
	v_fma_f16 v72, v26, s12, v71
	v_mul_f16_e32 v73, 0xbbad, v30
	v_add_f16_sdwa v72, v72, v18 dst_sel:DWORD dst_unused:UNUSED_PAD src0_sel:DWORD src1_sel:WORD_1
	v_fma_f16 v74, v21, s8, v73
	v_add_f16_e32 v72, v72, v74
	v_mul_f16_e32 v74, 0x36a6, v31
	v_fma_f16 v75, v20, s7, v74
	v_add_f16_e32 v72, v72, v75
	v_mul_f16_e32 v75, 0x3abb, v33
	;; [unrolled: 3-line block ×4, first 2 shown]
	v_fma_f16 v78, v39, s6, v77
	v_mul_f16_e32 v79, 0x3482, v48
	v_add_f16_e32 v78, v78, v18
	v_fma_f16 v80, v47, s0, v79
	v_add_f16_e32 v78, v78, v80
	v_mul_f16_e32 v80, 0x3b47, v51
	v_fma_f16 v81, v50, s5, v80
	v_add_f16_e32 v78, v78, v81
	v_mul_f16_e32 v81, 0xb853, v54
	;; [unrolled: 3-line block ×4, first 2 shown]
	v_fma_f16 v84, v26, s15, v83
	v_mul_f16_e32 v85, 0xb93d, v30
	v_add_f16_sdwa v84, v84, v18 dst_sel:DWORD dst_unused:UNUSED_PAD src0_sel:DWORD src1_sel:WORD_1
	v_fma_f16 v86, v21, s9, v85
	v_add_f16_e32 v8, v8, v18
	v_add_f16_e32 v84, v84, v86
	v_mul_f16_e32 v86, 0xbbad, v31
	v_add_f16_e32 v0, v8, v0
	v_fma_f16 v87, v20, s8, v86
	v_add_f16_e32 v0, v0, v7
	v_add_f16_e32 v84, v84, v87
	v_mul_f16_e32 v87, 0xb08e, v33
	v_add_f16_e32 v0, v0, v11
	;; [unrolled: 5-line block ×4, first 2 shown]
	v_fma_f16 v90, v39, s5, v89
	v_mul_f16_e32 v91, 0xba0c, v48
	v_add_f16_e32 v0, v9, v0
	v_add_f16_e32 v90, v90, v18
	v_fma_f16 v92, v47, s2, v91
	v_add_f16_e32 v7, v19, v0
	v_add_f16_sdwa v0, v27, v18 dst_sel:DWORD dst_unused:UNUSED_PAD src0_sel:DWORD src1_sel:WORD_1
	v_add_f16_e32 v90, v90, v92
	v_mul_f16_e32 v92, 0x3482, v51
	v_add_f16_e32 v0, v0, v29
	v_fma_f16 v93, v50, s0, v92
	v_add_f16_e32 v0, v0, v32
	v_add_f16_e32 v90, v90, v93
	v_mul_f16_e32 v93, 0x3beb, v54
	v_add_f16_e32 v0, v0, v34
	v_fma_f16 v94, v53, s6, v93
	v_add_f16_e32 v0, v0, v44
	v_add_f16_e32 v90, v90, v94
	v_mul_f16_e32 v94, 0x3853, v57
	v_add_f16_e32 v0, v41, v0
	v_fma_f16 v95, v56, s1, v94
	v_mul_f16_e32 v28, 0x3abb, v28
	v_add_f16_e32 v0, v14, v0
	v_add_f16_e32 v90, v90, v95
	v_fma_f16 v95, v26, s13, v28
	v_mul_f16_e32 v30, 0x36a6, v30
	v_add_f16_e32 v0, v15, v0
	v_add_f16_sdwa v95, v95, v18 dst_sel:DWORD dst_unused:UNUSED_PAD src0_sel:DWORD src1_sel:WORD_1
	v_fma_f16 v96, v21, s15, v30
	v_mul_f16_e32 v31, 0xb08e, v31
	v_add_f16_e32 v0, v16, v0
	v_add_f16_e32 v95, v95, v96
	v_fma_f16 v96, v20, s12, v31
	v_mul_f16_e32 v33, 0xb93d, v33
	v_add_f16_e32 v8, v17, v0
	v_fma_f16 v0, v26, s8, v35
	v_add_f16_e32 v95, v95, v96
	v_fma_f16 v96, v23, s9, v33
	v_add_f16_sdwa v0, v0, v18 dst_sel:DWORD dst_unused:UNUSED_PAD src0_sel:DWORD src1_sel:WORD_1
	v_fma_f16 v9, v21, s13, v36
	s_mov_b32 s9, 0xba0c
	v_add_f16_e32 v0, v0, v9
	v_fma_f16 v9, v20, s9, v37
	v_add_f16_e32 v0, v0, v9
	v_fma_f16 v9, v23, s15, v38
	v_add_f16_e32 v0, v0, v9
	v_fma_f16 v9, v22, s14, v46
	v_add_f16_e32 v9, v0, v9
	v_fma_f16 v0, v39, s0, -v42
	v_add_f16_e32 v0, v0, v18
	v_fma_f16 v10, v47, s1, -v49
	v_add_f16_e32 v0, v0, v10
	v_fma_f16 v10, v50, s2, -v52
	v_add_f16_e32 v0, v0, v10
	v_fma_f16 v10, v53, s5, -v55
	v_add_f16_e32 v0, v0, v10
	v_fma_f16 v10, v56, s6, -v58
	v_add_f16_e32 v10, v0, v10
	v_fma_f16 v0, v26, s9, v59
	v_add_f16_sdwa v0, v0, v18 dst_sel:DWORD dst_unused:UNUSED_PAD src0_sel:DWORD src1_sel:WORD_1
	v_fma_f16 v11, v21, s12, v61
	v_add_f16_e32 v0, v0, v11
	v_fma_f16 v11, v20, s3, v62
	v_add_f16_e32 v0, v0, v11
	v_fma_f16 v11, v23, s8, v63
	v_add_f16_e32 v0, v0, v11
	v_fma_f16 v11, v22, s15, v64
	v_add_f16_e32 v11, v0, v11
	v_fma_f16 v0, v39, s2, -v65
	v_add_f16_e32 v0, v0, v18
	v_fma_f16 v12, v47, s6, -v67
	v_add_f16_e32 v0, v0, v12
	v_fma_f16 v12, v50, s1, -v68
	v_add_f16_e32 v0, v0, v12
	v_fma_f16 v12, v53, s0, -v69
	v_add_f16_e32 v0, v0, v12
	v_fma_f16 v12, v56, s5, -v70
	v_add_f16_e32 v12, v0, v12
	v_fma_f16 v0, v26, s14, v71
	v_add_f16_sdwa v0, v0, v18 dst_sel:DWORD dst_unused:UNUSED_PAD src0_sel:DWORD src1_sel:WORD_1
	v_fma_f16 v13, v21, s4, v73
	;; [unrolled: 20-line block ×4, first 2 shown]
	v_add_f16_e32 v0, v0, v17
	v_fma_f16 v17, v20, s14, v31
	v_mul_f16_e32 v45, 0xbbad, v45
	v_add_f16_e32 v0, v0, v17
	v_fma_f16 v17, v23, s9, v33
	v_add_f16_e32 v95, v95, v96
	v_fma_f16 v96, v22, s4, v45
	v_mul_f16_e32 v40, 0xb853, v40
	v_add_f16_e32 v0, v0, v17
	v_fma_f16 v17, v22, s8, v45
	v_add_f16_e32 v95, v95, v96
	v_fma_f16 v96, v39, s1, v40
	v_mul_f16_e32 v48, 0xbb47, v48
	v_add_f16_e32 v17, v0, v17
	v_fma_f16 v0, v39, s1, -v40
	v_add_f16_e32 v96, v96, v18
	v_mul_f16_e32 v51, 0xbbeb, v51
	v_add_f16_e32 v0, v0, v18
	v_fma_f16 v18, v47, s5, -v48
	v_mul_f16_e32 v54, 0xba0c, v54
	v_add_f16_e32 v0, v0, v18
	v_fma_f16 v18, v50, s6, -v51
	;; [unrolled: 3-line block ×3, first 2 shown]
	v_add_f16_e32 v0, v0, v18
	v_fma_f16 v18, v56, s0, -v57
	v_add_f16_e32 v18, v0, v18
	v_mov_b32_e32 v0, s11
	v_addc_co_u32_e32 v6, vcc, v0, v6, vcc
	v_lshlrev_b64 v[0:1], 2, v[1:2]
	v_fma_f16 v97, v47, s5, v48
	v_add_co_u32_e32 v2, vcc, v5, v0
	v_add_f16_e32 v96, v96, v97
	v_fma_f16 v97, v50, s6, v51
	v_addc_co_u32_e32 v5, vcc, v6, v1, vcc
	v_lshlrev_b64 v[0:1], 2, v[3:4]
	v_add_f16_e32 v96, v96, v97
	v_fma_f16 v97, v53, s2, v54
	v_add_f16_e32 v96, v96, v97
	v_fma_f16 v97, v56, s0, v57
	v_add_co_u32_e32 v0, vcc, v2, v0
	v_add_f16_e32 v96, v96, v97
	v_addc_co_u32_e32 v1, vcc, v5, v1, vcc
	v_pack_b32_f16 v2, v7, v8
	global_store_dword v[0:1], v2, off
	v_pack_b32_f16 v2, v96, v95
	global_store_dword v[0:1], v2, off offset:660
	v_pack_b32_f16 v2, v90, v84
	global_store_dword v[0:1], v2, off offset:1320
	;; [unrolled: 2-line block ×6, first 2 shown]
	v_add_co_u32_e32 v0, vcc, 0x1000, v0
	v_pack_b32_f16 v2, v12, v11
	v_addc_co_u32_e32 v1, vcc, 0, v1, vcc
	global_store_dword v[0:1], v2, off offset:524
	v_pack_b32_f16 v2, v14, v13
	global_store_dword v[0:1], v2, off offset:1184
	v_pack_b32_f16 v2, v16, v15
	;; [unrolled: 2-line block ×3, first 2 shown]
	global_store_dword v[0:1], v2, off offset:2504
.LBB0_23:
	s_endpgm
	.section	.rodata,"a",@progbits
	.p2align	6, 0x0
	.amdhsa_kernel fft_rtc_back_len1815_factors_11_3_5_11_wgs_165_tpt_165_half_op_CI_CI_unitstride_sbrr_dirReg
		.amdhsa_group_segment_fixed_size 0
		.amdhsa_private_segment_fixed_size 0
		.amdhsa_kernarg_size 104
		.amdhsa_user_sgpr_count 6
		.amdhsa_user_sgpr_private_segment_buffer 1
		.amdhsa_user_sgpr_dispatch_ptr 0
		.amdhsa_user_sgpr_queue_ptr 0
		.amdhsa_user_sgpr_kernarg_segment_ptr 1
		.amdhsa_user_sgpr_dispatch_id 0
		.amdhsa_user_sgpr_flat_scratch_init 0
		.amdhsa_user_sgpr_private_segment_size 0
		.amdhsa_uses_dynamic_stack 0
		.amdhsa_system_sgpr_private_segment_wavefront_offset 0
		.amdhsa_system_sgpr_workgroup_id_x 1
		.amdhsa_system_sgpr_workgroup_id_y 0
		.amdhsa_system_sgpr_workgroup_id_z 0
		.amdhsa_system_sgpr_workgroup_info 0
		.amdhsa_system_vgpr_workitem_id 0
		.amdhsa_next_free_vgpr 98
		.amdhsa_next_free_sgpr 28
		.amdhsa_reserve_vcc 1
		.amdhsa_reserve_flat_scratch 0
		.amdhsa_float_round_mode_32 0
		.amdhsa_float_round_mode_16_64 0
		.amdhsa_float_denorm_mode_32 3
		.amdhsa_float_denorm_mode_16_64 3
		.amdhsa_dx10_clamp 1
		.amdhsa_ieee_mode 1
		.amdhsa_fp16_overflow 0
		.amdhsa_exception_fp_ieee_invalid_op 0
		.amdhsa_exception_fp_denorm_src 0
		.amdhsa_exception_fp_ieee_div_zero 0
		.amdhsa_exception_fp_ieee_overflow 0
		.amdhsa_exception_fp_ieee_underflow 0
		.amdhsa_exception_fp_ieee_inexact 0
		.amdhsa_exception_int_div_zero 0
	.end_amdhsa_kernel
	.text
.Lfunc_end0:
	.size	fft_rtc_back_len1815_factors_11_3_5_11_wgs_165_tpt_165_half_op_CI_CI_unitstride_sbrr_dirReg, .Lfunc_end0-fft_rtc_back_len1815_factors_11_3_5_11_wgs_165_tpt_165_half_op_CI_CI_unitstride_sbrr_dirReg
                                        ; -- End function
	.section	.AMDGPU.csdata,"",@progbits
; Kernel info:
; codeLenInByte = 9376
; NumSgprs: 32
; NumVgprs: 98
; ScratchSize: 0
; MemoryBound: 0
; FloatMode: 240
; IeeeMode: 1
; LDSByteSize: 0 bytes/workgroup (compile time only)
; SGPRBlocks: 3
; VGPRBlocks: 24
; NumSGPRsForWavesPerEU: 32
; NumVGPRsForWavesPerEU: 98
; Occupancy: 2
; WaveLimiterHint : 1
; COMPUTE_PGM_RSRC2:SCRATCH_EN: 0
; COMPUTE_PGM_RSRC2:USER_SGPR: 6
; COMPUTE_PGM_RSRC2:TRAP_HANDLER: 0
; COMPUTE_PGM_RSRC2:TGID_X_EN: 1
; COMPUTE_PGM_RSRC2:TGID_Y_EN: 0
; COMPUTE_PGM_RSRC2:TGID_Z_EN: 0
; COMPUTE_PGM_RSRC2:TIDIG_COMP_CNT: 0
	.type	__hip_cuid_f19c51cdeb96bda4,@object ; @__hip_cuid_f19c51cdeb96bda4
	.section	.bss,"aw",@nobits
	.globl	__hip_cuid_f19c51cdeb96bda4
__hip_cuid_f19c51cdeb96bda4:
	.byte	0                               ; 0x0
	.size	__hip_cuid_f19c51cdeb96bda4, 1

	.ident	"AMD clang version 19.0.0git (https://github.com/RadeonOpenCompute/llvm-project roc-6.4.0 25133 c7fe45cf4b819c5991fe208aaa96edf142730f1d)"
	.section	".note.GNU-stack","",@progbits
	.addrsig
	.addrsig_sym __hip_cuid_f19c51cdeb96bda4
	.amdgpu_metadata
---
amdhsa.kernels:
  - .args:
      - .actual_access:  read_only
        .address_space:  global
        .offset:         0
        .size:           8
        .value_kind:     global_buffer
      - .offset:         8
        .size:           8
        .value_kind:     by_value
      - .actual_access:  read_only
        .address_space:  global
        .offset:         16
        .size:           8
        .value_kind:     global_buffer
      - .actual_access:  read_only
        .address_space:  global
        .offset:         24
        .size:           8
        .value_kind:     global_buffer
      - .actual_access:  read_only
        .address_space:  global
        .offset:         32
        .size:           8
        .value_kind:     global_buffer
      - .offset:         40
        .size:           8
        .value_kind:     by_value
      - .actual_access:  read_only
        .address_space:  global
        .offset:         48
        .size:           8
        .value_kind:     global_buffer
      - .actual_access:  read_only
        .address_space:  global
        .offset:         56
        .size:           8
        .value_kind:     global_buffer
      - .offset:         64
        .size:           4
        .value_kind:     by_value
      - .actual_access:  read_only
        .address_space:  global
        .offset:         72
        .size:           8
        .value_kind:     global_buffer
      - .actual_access:  read_only
        .address_space:  global
        .offset:         80
        .size:           8
        .value_kind:     global_buffer
      - .actual_access:  read_only
        .address_space:  global
        .offset:         88
        .size:           8
        .value_kind:     global_buffer
      - .actual_access:  write_only
        .address_space:  global
        .offset:         96
        .size:           8
        .value_kind:     global_buffer
    .group_segment_fixed_size: 0
    .kernarg_segment_align: 8
    .kernarg_segment_size: 104
    .language:       OpenCL C
    .language_version:
      - 2
      - 0
    .max_flat_workgroup_size: 165
    .name:           fft_rtc_back_len1815_factors_11_3_5_11_wgs_165_tpt_165_half_op_CI_CI_unitstride_sbrr_dirReg
    .private_segment_fixed_size: 0
    .sgpr_count:     32
    .sgpr_spill_count: 0
    .symbol:         fft_rtc_back_len1815_factors_11_3_5_11_wgs_165_tpt_165_half_op_CI_CI_unitstride_sbrr_dirReg.kd
    .uniform_work_group_size: 1
    .uses_dynamic_stack: false
    .vgpr_count:     98
    .vgpr_spill_count: 0
    .wavefront_size: 64
amdhsa.target:   amdgcn-amd-amdhsa--gfx906
amdhsa.version:
  - 1
  - 2
...

	.end_amdgpu_metadata
